;; amdgpu-corpus repo=ROCm/rocFFT kind=compiled arch=gfx906 opt=O3
	.text
	.amdgcn_target "amdgcn-amd-amdhsa--gfx906"
	.amdhsa_code_object_version 6
	.protected	bluestein_single_back_len7_dim1_dp_op_CI_CI ; -- Begin function bluestein_single_back_len7_dim1_dp_op_CI_CI
	.globl	bluestein_single_back_len7_dim1_dp_op_CI_CI
	.p2align	8
	.type	bluestein_single_back_len7_dim1_dp_op_CI_CI,@function
bluestein_single_back_len7_dim1_dp_op_CI_CI: ; @bluestein_single_back_len7_dim1_dp_op_CI_CI
; %bb.0:
	s_load_dwordx4 s[12:15], s[4:5], 0x28
	v_lshl_or_b32 v1, s6, 6, v0
	v_mov_b32_e32 v2, 0
	s_waitcnt lgkmcnt(0)
	v_cmp_gt_u64_e32 vcc, s[12:13], v[1:2]
	s_and_saveexec_b64 s[0:1], vcc
	s_cbranch_execz .LBB0_2
; %bb.1:
	s_load_dwordx4 s[0:3], s[4:5], 0x18
	s_load_dwordx2 s[24:25], s[4:5], 0x0
	v_mov_b32_e32 v5, s15
	v_mul_u32_u24_e32 v0, 0x70, v0
	s_mov_b32 s28, 0x37e14327
	s_waitcnt lgkmcnt(0)
	s_load_dwordx4 s[8:11], s[0:1], 0x0
	s_mov_b32 s29, 0x3fe948f6
	s_mov_b32 s35, 0xbfe11646
	;; [unrolled: 1-line block ×4, first 2 shown]
	s_waitcnt lgkmcnt(0)
	v_mad_u64_u32 v[2:3], s[0:1], s10, v1, 0
	s_lshl_b64 s[0:1], s[8:9], 4
	s_mov_b32 s31, 0xbfebfeb5
	v_mad_u64_u32 v[3:4], s[6:7], s11, v1, v[3:4]
	v_mov_b32_e32 v4, s1
	s_lshl_b64 s[6:7], s[8:9], 5
	v_lshlrev_b64 v[2:3], 4, v[2:3]
	v_mov_b32_e32 v12, s7
	v_add_co_u32_e32 v20, vcc, s14, v2
	v_addc_co_u32_e32 v21, vcc, v5, v3, vcc
	v_add_co_u32_e32 v2, vcc, s0, v20
	v_addc_co_u32_e32 v3, vcc, v21, v4, vcc
	global_load_dwordx4 v[4:7], v[20:21], off
	global_load_dwordx4 v[8:11], v[2:3], off
	v_add_co_u32_e32 v2, vcc, s6, v20
	v_mad_u64_u32 v[28:29], s[0:1], s8, 48, v[20:21]
	v_addc_co_u32_e32 v3, vcc, v21, v12, vcc
	s_lshl_b64 s[0:1], s[8:9], 6
	v_mov_b32_e32 v12, s1
	v_add_co_u32_e32 v22, vcc, s0, v20
	v_addc_co_u32_e32 v23, vcc, v21, v12, vcc
	global_load_dwordx4 v[12:15], v[2:3], off
	global_load_dwordx4 v[16:19], v[22:23], off
	v_mov_b32_e32 v3, 0x60
	v_mov_b32_e32 v2, 0x50
	v_mad_u64_u32 v[24:25], s[0:1], s8, v3, v[20:21]
	v_mad_u64_u32 v[22:23], s[0:1], s8, v2, v[20:21]
	s_mul_i32 s0, s9, 0x60
	s_mul_i32 s6, s9, 0x50
	v_add_u32_e32 v25, s0, v25
	v_mad_u64_u32 v[29:30], s[0:1], s9, 48, v[29:30]
	v_add_u32_e32 v23, s6, v23
	global_load_dwordx4 v[20:23], v[22:23], off
	s_load_dwordx16 s[36:51], s[24:25], 0x0
	global_load_dwordx4 v[24:27], v[24:25], off
	s_load_dwordx16 s[8:23], s[24:25], 0x40
	global_load_dwordx4 v[28:31], v[28:29], off
	s_load_dwordx4 s[0:3], s[2:3], 0x0
	s_mov_b32 s6, 0x36b3c0b5
	s_mov_b32 s7, 0x3fac98ee
	s_mov_b32 s68, 0xaaaaaaaa
	s_mov_b32 s70, 0x5476071b
	s_mov_b32 s74, 0xb247c609
	s_mov_b32 s69, 0xbff2aaaa
	s_mov_b32 s71, 0x3fe77f67
	s_mov_b32 s73, 0xbfe77f67
	s_mov_b32 s72, s70
	s_mov_b32 s75, 0x3fd5d0dc
	s_mov_b32 s79, 0xbfd5d0dc
	s_mov_b32 s78, s74
	s_mov_b32 s81, 0x3febfeb5
	s_mov_b32 s80, s30
	s_mov_b32 s77, 0x3fdc38aa
	s_mov_b32 s76, 0x37c3f68c
	s_load_dwordx2 s[4:5], s[4:5], 0x38
	s_waitcnt vmcnt(6) lgkmcnt(0)
	v_mul_f64 v[32:33], v[6:7], s[38:39]
	v_mul_f64 v[34:35], v[4:5], s[38:39]
	s_waitcnt vmcnt(5)
	v_mul_f64 v[36:37], v[10:11], s[42:43]
	v_mul_f64 v[38:39], v[8:9], s[42:43]
	v_fma_f64 v[4:5], v[4:5], s[36:37], v[32:33]
	v_fma_f64 v[6:7], v[6:7], s[36:37], -v[34:35]
	v_fma_f64 v[8:9], v[8:9], s[40:41], v[36:37]
	v_fma_f64 v[10:11], v[10:11], s[40:41], -v[38:39]
	s_waitcnt vmcnt(4)
	v_mul_f64 v[40:41], v[14:15], s[46:47]
	v_mul_f64 v[42:43], v[12:13], s[46:47]
	s_waitcnt vmcnt(3)
	v_mul_f64 v[44:45], v[18:19], s[10:11]
	v_mul_f64 v[46:47], v[16:17], s[10:11]
	v_fma_f64 v[12:13], v[12:13], s[44:45], v[40:41]
	v_fma_f64 v[14:15], v[14:15], s[44:45], -v[42:43]
	v_fma_f64 v[16:17], v[16:17], s[8:9], v[44:45]
	v_fma_f64 v[18:19], v[18:19], s[8:9], -v[46:47]
	s_waitcnt vmcnt(2)
	v_mul_f64 v[48:49], v[22:23], s[14:15]
	v_mul_f64 v[50:51], v[20:21], s[14:15]
	s_waitcnt vmcnt(1)
	v_mul_f64 v[52:53], v[26:27], s[18:19]
	v_mul_f64 v[54:55], v[24:25], s[18:19]
	;; [unrolled: 3-line block ×3, first 2 shown]
	v_fma_f64 v[20:21], v[20:21], s[12:13], v[48:49]
	v_fma_f64 v[22:23], v[22:23], s[12:13], -v[50:51]
	v_fma_f64 v[24:25], v[24:25], s[16:17], v[52:53]
	v_fma_f64 v[26:27], v[26:27], s[16:17], -v[54:55]
	;; [unrolled: 2-line block ×3, first 2 shown]
	ds_write_b128 v0, v[4:7]
	ds_write_b128 v0, v[8:11] offset:16
	ds_write_b128 v0, v[12:15] offset:32
	;; [unrolled: 1-line block ×6, first 2 shown]
	s_waitcnt lgkmcnt(0)
	; wave barrier
	s_waitcnt lgkmcnt(0)
	ds_read_b128 v[4:7], v0
	ds_read_b128 v[8:11], v0 offset:16
	ds_read_b128 v[12:15], v0 offset:96
	ds_read_b128 v[16:19], v0 offset:32
	ds_read_b128 v[20:23], v0 offset:48
	ds_read_b128 v[24:27], v0 offset:64
	ds_read_b128 v[28:31], v0 offset:80
	s_waitcnt lgkmcnt(4)
	v_add_f64 v[32:33], v[8:9], v[12:13]
	v_add_f64 v[34:35], v[10:11], v[14:15]
	v_add_f64 v[8:9], v[8:9], -v[12:13]
	v_add_f64 v[10:11], v[10:11], -v[14:15]
	s_waitcnt lgkmcnt(0)
	v_add_f64 v[12:13], v[16:17], v[28:29]
	v_add_f64 v[14:15], v[18:19], v[30:31]
	v_add_f64 v[16:17], v[16:17], -v[28:29]
	v_add_f64 v[18:19], v[18:19], -v[30:31]
	v_add_f64 v[28:29], v[20:21], v[24:25]
	v_add_f64 v[30:31], v[22:23], v[26:27]
	v_add_f64 v[20:21], v[24:25], -v[20:21]
	v_add_f64 v[22:23], v[26:27], -v[22:23]
	;; [unrolled: 4-line block ×3, first 2 shown]
	v_add_f64 v[32:33], v[32:33], -v[28:29]
	v_add_f64 v[34:35], v[34:35], -v[30:31]
	;; [unrolled: 1-line block ×4, first 2 shown]
	v_add_f64 v[40:41], v[20:21], v[16:17]
	v_add_f64 v[42:43], v[22:23], v[18:19]
	v_add_f64 v[44:45], v[20:21], -v[16:17]
	v_add_f64 v[46:47], v[22:23], -v[18:19]
	v_add_f64 v[24:25], v[28:29], v[24:25]
	v_add_f64 v[26:27], v[30:31], v[26:27]
	v_add_f64 v[16:17], v[16:17], -v[8:9]
	v_add_f64 v[18:19], v[18:19], -v[10:11]
	;; [unrolled: 1-line block ×4, first 2 shown]
	v_add_f64 v[8:9], v[40:41], v[8:9]
	v_add_f64 v[10:11], v[42:43], v[10:11]
	v_mul_f64 v[28:29], v[32:33], s[28:29]
	v_mul_f64 v[30:31], v[34:35], s[28:29]
	;; [unrolled: 1-line block ×6, first 2 shown]
	v_add_f64 v[4:5], v[4:5], v[24:25]
	v_add_f64 v[6:7], v[6:7], v[26:27]
	v_mul_f64 v[44:45], v[16:17], s[30:31]
	v_mul_f64 v[46:47], v[18:19], s[30:31]
	v_fma_f64 v[12:13], v[12:13], s[6:7], v[28:29]
	v_fma_f64 v[14:15], v[14:15], s[6:7], v[30:31]
	v_fma_f64 v[32:33], v[36:37], s[70:71], -v[32:33]
	v_fma_f64 v[34:35], v[38:39], s[70:71], -v[34:35]
	;; [unrolled: 1-line block ×3, first 2 shown]
	v_fma_f64 v[24:25], v[24:25], s[68:69], v[4:5]
	v_fma_f64 v[26:27], v[26:27], s[68:69], v[6:7]
	v_fma_f64 v[30:31], v[38:39], s[72:73], -v[30:31]
	v_fma_f64 v[36:37], v[20:21], s[74:75], v[40:41]
	v_fma_f64 v[38:39], v[22:23], s[74:75], v[42:43]
	;; [unrolled: 1-line block ×4, first 2 shown]
	v_fma_f64 v[16:17], v[16:17], s[80:81], -v[40:41]
	v_fma_f64 v[18:19], v[18:19], s[80:81], -v[42:43]
	v_add_f64 v[40:41], v[12:13], v[24:25]
	v_add_f64 v[42:43], v[14:15], v[26:27]
	;; [unrolled: 1-line block ×6, first 2 shown]
	v_fma_f64 v[28:29], v[10:11], s[76:77], v[38:39]
	v_fma_f64 v[30:31], v[8:9], s[76:77], v[36:37]
	;; [unrolled: 1-line block ×6, first 2 shown]
	s_mov_b32 s35, 0x3fe11646
	s_mov_b32 s77, 0xbfdc38aa
	v_add_f64 v[8:9], v[40:41], v[28:29]
	v_add_f64 v[10:11], v[42:43], -v[30:31]
	v_add_f64 v[12:13], v[24:25], v[36:37]
	v_add_f64 v[14:15], v[26:27], -v[38:39]
	v_add_f64 v[16:17], v[32:33], -v[20:21]
	v_add_f64 v[18:19], v[22:23], v[34:35]
	v_add_f64 v[20:21], v[32:33], v[20:21]
	v_add_f64 v[22:23], v[34:35], -v[22:23]
	v_add_f64 v[24:25], v[24:25], -v[36:37]
	v_add_f64 v[26:27], v[38:39], v[26:27]
	v_add_f64 v[28:29], v[40:41], -v[28:29]
	v_add_f64 v[30:31], v[30:31], v[42:43]
	ds_write_b128 v0, v[4:7]
	ds_write_b128 v0, v[8:11] offset:16
	ds_write_b128 v0, v[12:15] offset:32
	;; [unrolled: 1-line block ×6, first 2 shown]
	s_waitcnt lgkmcnt(0)
	; wave barrier
	s_waitcnt lgkmcnt(0)
	ds_read_b128 v[4:7], v0
	ds_read_b128 v[8:11], v0 offset:16
	s_load_dwordx16 s[52:67], s[24:25], 0x80
	ds_read_b128 v[12:15], v0 offset:32
	ds_read_b128 v[16:19], v0 offset:48
	s_waitcnt lgkmcnt(0)
	v_mul_f64 v[20:21], v[6:7], s[22:23]
	v_mul_f64 v[22:23], v[4:5], s[22:23]
	;; [unrolled: 1-line block ×8, first 2 shown]
	v_fma_f64 v[4:5], v[4:5], s[20:21], -v[20:21]
	v_fma_f64 v[6:7], v[6:7], s[20:21], v[22:23]
	v_fma_f64 v[8:9], v[8:9], s[52:53], -v[24:25]
	v_fma_f64 v[10:11], v[10:11], s[52:53], v[26:27]
	ds_read_b128 v[20:23], v0 offset:64
	ds_read_b128 v[24:27], v0 offset:80
	s_load_dwordx8 s[20:27], s[24:25], 0xc0
	v_fma_f64 v[12:13], v[12:13], s[56:57], -v[28:29]
	v_fma_f64 v[14:15], v[14:15], s[56:57], v[30:31]
	ds_read_b128 v[28:31], v0 offset:96
	s_waitcnt lgkmcnt(0)
	v_mul_f64 v[36:37], v[22:23], s[66:67]
	v_mul_f64 v[38:39], v[20:21], s[66:67]
	;; [unrolled: 1-line block ×6, first 2 shown]
	v_fma_f64 v[16:17], v[16:17], s[60:61], -v[32:33]
	v_fma_f64 v[18:19], v[18:19], s[60:61], v[34:35]
	v_fma_f64 v[20:21], v[20:21], s[64:65], -v[36:37]
	v_fma_f64 v[22:23], v[22:23], s[64:65], v[38:39]
	;; [unrolled: 2-line block ×4, first 2 shown]
	ds_write_b128 v0, v[4:7]
	ds_write_b128 v0, v[8:11] offset:16
	ds_write_b128 v0, v[12:15] offset:32
	;; [unrolled: 1-line block ×6, first 2 shown]
	s_waitcnt lgkmcnt(0)
	; wave barrier
	s_waitcnt lgkmcnt(0)
	ds_read_b128 v[4:7], v0
	ds_read_b128 v[8:11], v0 offset:16
	ds_read_b128 v[12:15], v0 offset:96
	;; [unrolled: 1-line block ×6, first 2 shown]
	s_waitcnt lgkmcnt(4)
	v_add_f64 v[32:33], v[8:9], v[12:13]
	v_add_f64 v[34:35], v[10:11], v[14:15]
	v_add_f64 v[8:9], v[8:9], -v[12:13]
	v_add_f64 v[10:11], v[10:11], -v[14:15]
	s_waitcnt lgkmcnt(0)
	v_add_f64 v[12:13], v[16:17], v[28:29]
	v_add_f64 v[14:15], v[18:19], v[30:31]
	v_add_f64 v[16:17], v[16:17], -v[28:29]
	v_add_f64 v[18:19], v[18:19], -v[30:31]
	v_add_f64 v[28:29], v[20:21], v[24:25]
	v_add_f64 v[30:31], v[22:23], v[26:27]
	v_add_f64 v[20:21], v[24:25], -v[20:21]
	v_add_f64 v[22:23], v[26:27], -v[22:23]
	;; [unrolled: 4-line block ×3, first 2 shown]
	v_add_f64 v[32:33], v[32:33], -v[28:29]
	v_add_f64 v[34:35], v[34:35], -v[30:31]
	;; [unrolled: 1-line block ×4, first 2 shown]
	v_add_f64 v[40:41], v[20:21], v[16:17]
	v_add_f64 v[42:43], v[22:23], v[18:19]
	v_add_f64 v[44:45], v[20:21], -v[16:17]
	v_add_f64 v[46:47], v[22:23], -v[18:19]
	v_add_f64 v[24:25], v[28:29], v[24:25]
	v_add_f64 v[26:27], v[30:31], v[26:27]
	v_add_f64 v[16:17], v[16:17], -v[8:9]
	v_add_f64 v[18:19], v[18:19], -v[10:11]
	;; [unrolled: 1-line block ×4, first 2 shown]
	v_add_f64 v[8:9], v[40:41], v[8:9]
	v_add_f64 v[10:11], v[42:43], v[10:11]
	;; [unrolled: 1-line block ×4, first 2 shown]
	v_mul_f64 v[28:29], v[32:33], s[28:29]
	v_mul_f64 v[30:31], v[34:35], s[28:29]
	;; [unrolled: 1-line block ×8, first 2 shown]
	v_fma_f64 v[24:25], v[24:25], s[68:69], v[4:5]
	v_fma_f64 v[26:27], v[26:27], s[68:69], v[6:7]
	;; [unrolled: 1-line block ×4, first 2 shown]
	v_fma_f64 v[32:33], v[36:37], s[70:71], -v[32:33]
	v_fma_f64 v[34:35], v[38:39], s[70:71], -v[34:35]
	;; [unrolled: 1-line block ×4, first 2 shown]
	v_fma_f64 v[36:37], v[20:21], s[78:79], v[40:41]
	v_fma_f64 v[38:39], v[22:23], s[78:79], v[42:43]
	;; [unrolled: 1-line block ×4, first 2 shown]
	v_fma_f64 v[16:17], v[16:17], s[30:31], -v[40:41]
	v_fma_f64 v[18:19], v[18:19], s[30:31], -v[42:43]
	v_add_f64 v[40:41], v[12:13], v[24:25]
	v_add_f64 v[42:43], v[14:15], v[26:27]
	;; [unrolled: 1-line block ×6, first 2 shown]
	v_fma_f64 v[28:29], v[10:11], s[76:77], v[38:39]
	v_fma_f64 v[30:31], v[8:9], s[76:77], v[36:37]
	;; [unrolled: 1-line block ×6, first 2 shown]
	v_add_f64 v[8:9], v[40:41], v[28:29]
	v_add_f64 v[10:11], v[42:43], -v[30:31]
	v_add_f64 v[12:13], v[24:25], v[36:37]
	v_add_f64 v[14:15], v[26:27], -v[38:39]
	v_add_f64 v[16:17], v[32:33], -v[20:21]
	v_add_f64 v[18:19], v[22:23], v[34:35]
	v_add_f64 v[20:21], v[32:33], v[20:21]
	v_add_f64 v[22:23], v[34:35], -v[22:23]
	v_add_f64 v[24:25], v[24:25], -v[36:37]
	v_add_f64 v[26:27], v[38:39], v[26:27]
	v_add_f64 v[28:29], v[40:41], -v[28:29]
	v_add_f64 v[30:31], v[30:31], v[42:43]
	ds_write_b128 v0, v[4:7]
	ds_write_b128 v0, v[8:11] offset:16
	ds_write_b128 v0, v[12:15] offset:32
	ds_write_b128 v0, v[16:19] offset:48
	ds_write_b128 v0, v[20:23] offset:64
	ds_write_b128 v0, v[24:27] offset:80
	ds_write_b128 v0, v[28:31] offset:96
	s_waitcnt lgkmcnt(0)
	; wave barrier
	s_waitcnt lgkmcnt(0)
	ds_read_b128 v[4:7], v0
	ds_read_b128 v[8:11], v0 offset:16
	v_mad_u64_u32 v[32:33], s[6:7], s2, v1, 0
	s_waitcnt lgkmcnt(1)
	v_mul_f64 v[13:14], s[38:39], v[6:7]
	v_mul_f64 v[15:16], s[38:39], v[4:5]
	s_waitcnt lgkmcnt(0)
	v_mul_f64 v[21:22], s[42:43], v[10:11]
	v_mul_f64 v[23:24], s[42:43], v[8:9]
	v_mov_b32_e32 v12, v33
	v_mad_u64_u32 v[17:18], s[2:3], s3, v1, v[12:13]
	v_fma_f64 v[19:20], s[36:37], v[6:7], -v[15:16]
	v_fma_f64 v[8:9], s[40:41], v[8:9], v[21:22]
	v_mov_b32_e32 v33, v17
	v_fma_f64 v[17:18], s[36:37], v[4:5], v[13:14]
	v_fma_f64 v[10:11], s[40:41], v[10:11], -v[23:24]
	s_mov_b32 s2, 0x92492492
	s_mov_b32 s3, 0x3fc24924
	ds_read_b128 v[4:7], v0 offset:32
	ds_read_b128 v[12:15], v0 offset:48
	v_lshlrev_b64 v[25:26], 4, v[32:33]
	v_mul_f64 v[8:9], v[8:9], s[2:3]
	v_mov_b32_e32 v1, s5
	v_mul_f64 v[16:17], v[17:18], s[2:3]
	v_mul_f64 v[18:19], v[19:20], s[2:3]
	;; [unrolled: 1-line block ×3, first 2 shown]
	s_waitcnt lgkmcnt(1)
	v_mul_f64 v[20:21], s[46:47], v[6:7]
	v_mul_f64 v[22:23], s[46:47], v[4:5]
	v_add_co_u32_e32 v24, vcc, s4, v25
	v_addc_co_u32_e32 v25, vcc, v1, v26, vcc
	s_lshl_b64 s[4:5], s[0:1], 4
	global_store_dwordx4 v[24:25], v[16:19], off
	v_mov_b32_e32 v1, s5
	v_add_co_u32_e32 v16, vcc, s4, v24
	v_addc_co_u32_e32 v17, vcc, v25, v1, vcc
	global_store_dwordx4 v[16:17], v[8:11], off
	v_fma_f64 v[4:5], s[44:45], v[4:5], v[20:21]
	s_waitcnt lgkmcnt(0)
	v_mul_f64 v[8:9], s[50:51], v[14:15]
	v_fma_f64 v[6:7], s[44:45], v[6:7], -v[22:23]
	v_mul_f64 v[16:17], s[50:51], v[12:13]
	s_lshl_b64 s[4:5], s[0:1], 5
	v_mov_b32_e32 v1, s5
	v_add_co_u32_e32 v18, vcc, s4, v24
	v_mul_f64 v[4:5], v[4:5], s[2:3]
	v_fma_f64 v[20:21], s[48:49], v[12:13], v[8:9]
	ds_read_b128 v[8:11], v0 offset:64
	v_mul_f64 v[6:7], v[6:7], s[2:3]
	v_fma_f64 v[16:17], s[48:49], v[14:15], -v[16:17]
	ds_read_b128 v[12:15], v0 offset:80
	v_mad_u64_u32 v[22:23], s[4:5], s0, 48, v[24:25]
	s_waitcnt lgkmcnt(1)
	v_mul_f64 v[26:27], s[10:11], v[10:11]
	v_mul_f64 v[28:29], s[10:11], v[8:9]
	v_addc_co_u32_e32 v19, vcc, v25, v1, vcc
	global_store_dwordx4 v[18:19], v[4:7], off
	v_mov_b32_e32 v1, v23
	v_mul_f64 v[4:5], v[20:21], s[2:3]
	v_mul_f64 v[6:7], v[16:17], s[2:3]
	v_mad_u64_u32 v[16:17], s[4:5], s1, 48, v[1:2]
	v_fma_f64 v[17:18], s[8:9], v[8:9], v[26:27]
	v_fma_f64 v[19:20], s[8:9], v[10:11], -v[28:29]
	ds_read_b128 v[8:11], v0 offset:96
	v_mov_b32_e32 v23, v16
	s_waitcnt lgkmcnt(1)
	v_mul_f64 v[0:1], s[14:15], v[14:15]
	global_store_dwordx4 v[22:23], v[4:7], off
	v_mul_f64 v[21:22], s[14:15], v[12:13]
	s_waitcnt lgkmcnt(0)
	v_mul_f64 v[26:27], s[18:19], v[10:11]
	v_mul_f64 v[28:29], s[18:19], v[8:9]
	;; [unrolled: 1-line block ×4, first 2 shown]
	s_lshl_b64 s[4:5], s[0:1], 6
	v_fma_f64 v[0:1], s[12:13], v[12:13], v[0:1]
	v_mov_b32_e32 v16, s5
	v_fma_f64 v[12:13], s[12:13], v[14:15], -v[21:22]
	v_fma_f64 v[8:9], s[16:17], v[8:9], v[26:27]
	v_fma_f64 v[10:11], s[16:17], v[10:11], -v[28:29]
	v_add_co_u32_e32 v14, vcc, s4, v24
	v_addc_co_u32_e32 v15, vcc, v25, v16, vcc
	global_store_dwordx4 v[14:15], v[4:7], off
	v_mul_f64 v[8:9], v[8:9], s[2:3]
	v_mul_f64 v[4:5], v[0:1], s[2:3]
	;; [unrolled: 1-line block ×4, first 2 shown]
	v_mad_u64_u32 v[0:1], s[4:5], s0, v2, v[24:25]
	v_mad_u64_u32 v[2:3], s[2:3], s0, v3, v[24:25]
	s_mul_i32 s4, s1, 0x50
	s_mul_i32 s0, s1, 0x60
	v_add_u32_e32 v1, s4, v1
	v_add_u32_e32 v3, s0, v3
	global_store_dwordx4 v[0:1], v[4:7], off
	global_store_dwordx4 v[2:3], v[8:11], off
.LBB0_2:
	s_endpgm
	.section	.rodata,"a",@progbits
	.p2align	6, 0x0
	.amdhsa_kernel bluestein_single_back_len7_dim1_dp_op_CI_CI
		.amdhsa_group_segment_fixed_size 7168
		.amdhsa_private_segment_fixed_size 0
		.amdhsa_kernarg_size 104
		.amdhsa_user_sgpr_count 6
		.amdhsa_user_sgpr_private_segment_buffer 1
		.amdhsa_user_sgpr_dispatch_ptr 0
		.amdhsa_user_sgpr_queue_ptr 0
		.amdhsa_user_sgpr_kernarg_segment_ptr 1
		.amdhsa_user_sgpr_dispatch_id 0
		.amdhsa_user_sgpr_flat_scratch_init 0
		.amdhsa_user_sgpr_private_segment_size 0
		.amdhsa_uses_dynamic_stack 0
		.amdhsa_system_sgpr_private_segment_wavefront_offset 0
		.amdhsa_system_sgpr_workgroup_id_x 1
		.amdhsa_system_sgpr_workgroup_id_y 0
		.amdhsa_system_sgpr_workgroup_id_z 0
		.amdhsa_system_sgpr_workgroup_info 0
		.amdhsa_system_vgpr_workitem_id 0
		.amdhsa_next_free_vgpr 56
		.amdhsa_next_free_sgpr 82
		.amdhsa_reserve_vcc 1
		.amdhsa_reserve_flat_scratch 0
		.amdhsa_float_round_mode_32 0
		.amdhsa_float_round_mode_16_64 0
		.amdhsa_float_denorm_mode_32 3
		.amdhsa_float_denorm_mode_16_64 3
		.amdhsa_dx10_clamp 1
		.amdhsa_ieee_mode 1
		.amdhsa_fp16_overflow 0
		.amdhsa_exception_fp_ieee_invalid_op 0
		.amdhsa_exception_fp_denorm_src 0
		.amdhsa_exception_fp_ieee_div_zero 0
		.amdhsa_exception_fp_ieee_overflow 0
		.amdhsa_exception_fp_ieee_underflow 0
		.amdhsa_exception_fp_ieee_inexact 0
		.amdhsa_exception_int_div_zero 0
	.end_amdhsa_kernel
	.text
.Lfunc_end0:
	.size	bluestein_single_back_len7_dim1_dp_op_CI_CI, .Lfunc_end0-bluestein_single_back_len7_dim1_dp_op_CI_CI
                                        ; -- End function
	.section	.AMDGPU.csdata,"",@progbits
; Kernel info:
; codeLenInByte = 3372
; NumSgprs: 86
; NumVgprs: 56
; ScratchSize: 0
; MemoryBound: 0
; FloatMode: 240
; IeeeMode: 1
; LDSByteSize: 7168 bytes/workgroup (compile time only)
; SGPRBlocks: 10
; VGPRBlocks: 13
; NumSGPRsForWavesPerEU: 86
; NumVGPRsForWavesPerEU: 56
; Occupancy: 3
; WaveLimiterHint : 1
; COMPUTE_PGM_RSRC2:SCRATCH_EN: 0
; COMPUTE_PGM_RSRC2:USER_SGPR: 6
; COMPUTE_PGM_RSRC2:TRAP_HANDLER: 0
; COMPUTE_PGM_RSRC2:TGID_X_EN: 1
; COMPUTE_PGM_RSRC2:TGID_Y_EN: 0
; COMPUTE_PGM_RSRC2:TGID_Z_EN: 0
; COMPUTE_PGM_RSRC2:TIDIG_COMP_CNT: 0
	.type	__hip_cuid_3a874ee80c519005,@object ; @__hip_cuid_3a874ee80c519005
	.section	.bss,"aw",@nobits
	.globl	__hip_cuid_3a874ee80c519005
__hip_cuid_3a874ee80c519005:
	.byte	0                               ; 0x0
	.size	__hip_cuid_3a874ee80c519005, 1

	.ident	"AMD clang version 19.0.0git (https://github.com/RadeonOpenCompute/llvm-project roc-6.4.0 25133 c7fe45cf4b819c5991fe208aaa96edf142730f1d)"
	.section	".note.GNU-stack","",@progbits
	.addrsig
	.addrsig_sym __hip_cuid_3a874ee80c519005
	.amdgpu_metadata
---
amdhsa.kernels:
  - .args:
      - .actual_access:  read_only
        .address_space:  global
        .offset:         0
        .size:           8
        .value_kind:     global_buffer
      - .actual_access:  read_only
        .address_space:  global
        .offset:         8
        .size:           8
        .value_kind:     global_buffer
      - .actual_access:  read_only
        .address_space:  global
        .offset:         16
        .size:           8
        .value_kind:     global_buffer
      - .actual_access:  read_only
        .address_space:  global
        .offset:         24
        .size:           8
        .value_kind:     global_buffer
      - .actual_access:  read_only
        .address_space:  global
        .offset:         32
        .size:           8
        .value_kind:     global_buffer
      - .offset:         40
        .size:           8
        .value_kind:     by_value
      - .address_space:  global
        .offset:         48
        .size:           8
        .value_kind:     global_buffer
      - .address_space:  global
        .offset:         56
        .size:           8
        .value_kind:     global_buffer
      - .address_space:  global
        .offset:         64
        .size:           8
        .value_kind:     global_buffer
      - .address_space:  global
        .offset:         72
        .size:           8
        .value_kind:     global_buffer
      - .offset:         80
        .size:           4
        .value_kind:     by_value
      - .address_space:  global
        .offset:         88
        .size:           8
        .value_kind:     global_buffer
      - .address_space:  global
        .offset:         96
        .size:           8
        .value_kind:     global_buffer
    .group_segment_fixed_size: 7168
    .kernarg_segment_align: 8
    .kernarg_segment_size: 104
    .language:       OpenCL C
    .language_version:
      - 2
      - 0
    .max_flat_workgroup_size: 64
    .name:           bluestein_single_back_len7_dim1_dp_op_CI_CI
    .private_segment_fixed_size: 0
    .sgpr_count:     86
    .sgpr_spill_count: 0
    .symbol:         bluestein_single_back_len7_dim1_dp_op_CI_CI.kd
    .uniform_work_group_size: 1
    .uses_dynamic_stack: false
    .vgpr_count:     56
    .vgpr_spill_count: 0
    .wavefront_size: 64
amdhsa.target:   amdgcn-amd-amdhsa--gfx906
amdhsa.version:
  - 1
  - 2
...

	.end_amdgpu_metadata
